;; amdgpu-corpus repo=ROCm/rocSPARSE kind=compiled arch=gfx906 opt=O3
	.amdgcn_target "amdgcn-amd-amdhsa--gfx906"
	.amdhsa_code_object_version 6
	.section	.text._ZN9rocsparseL18hyb2csr_nnz_kernelILj256EEEviiiiPKiiS2_Pi21rocsparse_index_base_,"axG",@progbits,_ZN9rocsparseL18hyb2csr_nnz_kernelILj256EEEviiiiPKiiS2_Pi21rocsparse_index_base_,comdat
	.globl	_ZN9rocsparseL18hyb2csr_nnz_kernelILj256EEEviiiiPKiiS2_Pi21rocsparse_index_base_ ; -- Begin function _ZN9rocsparseL18hyb2csr_nnz_kernelILj256EEEviiiiPKiiS2_Pi21rocsparse_index_base_
	.p2align	8
	.type	_ZN9rocsparseL18hyb2csr_nnz_kernelILj256EEEviiiiPKiiS2_Pi21rocsparse_index_base_,@function
_ZN9rocsparseL18hyb2csr_nnz_kernelILj256EEEviiiiPKiiS2_Pi21rocsparse_index_base_: ; @_ZN9rocsparseL18hyb2csr_nnz_kernelILj256EEEviiiiPKiiS2_Pi21rocsparse_index_base_
; %bb.0:
	s_load_dwordx4 s[8:11], s[4:5], 0x0
	v_lshl_or_b32 v0, s6, 8, v0
	s_waitcnt lgkmcnt(0)
	v_cmp_gt_i32_e32 vcc, s8, v0
	s_and_saveexec_b64 s[0:1], vcc
	s_cbranch_execz .LBB0_11
; %bb.1:
	s_load_dword s6, s[4:5], 0x18
	s_load_dwordx4 s[0:3], s[4:5], 0x20
	v_ashrrev_i32_e32 v1, 31, v0
	s_waitcnt lgkmcnt(0)
	s_cmp_lt_i32 s6, 1
	s_cbranch_scc1 .LBB0_8
; %bb.2:
	v_lshlrev_b64 v[2:3], 2, v[0:1]
	v_mov_b32_e32 v4, s1
	v_add_co_u32_e32 v2, vcc, s0, v2
	v_addc_co_u32_e32 v3, vcc, v4, v3, vcc
	global_load_dwordx2 v[2:3], v[2:3], off
	s_waitcnt vmcnt(0)
	v_sub_u32_e32 v5, v3, v2
	s_min_i32 s0, s10, s11
	s_cmp_lt_i32 s0, 1
	s_cbranch_scc1 .LBB0_9
.LBB0_3:
	s_load_dwordx2 s[6:7], s[4:5], 0x10
	s_load_dword s12, s[4:5], 0x30
	v_add_u32_e32 v4, s11, v5
	s_mov_b64 s[4:5], 0
	v_mov_b32_e32 v6, s11
	s_waitcnt lgkmcnt(0)
	v_mov_b32_e32 v7, s7
	v_mov_b32_e32 v2, v0
                                        ; implicit-def: $sgpr10_sgpr11
	s_branch .LBB0_5
.LBB0_4:                                ;   in Loop: Header=BB0_5 Depth=1
	s_or_b64 exec, exec, s[0:1]
	s_and_b64 s[0:1], exec, s[10:11]
	v_mov_b32_e32 v8, v5
	s_or_b64 s[4:5], s[0:1], s[4:5]
	v_mov_b32_e32 v5, v3
	s_andn2_b64 exec, exec, s[4:5]
	s_cbranch_execz .LBB0_7
.LBB0_5:                                ; =>This Inner Loop Header: Depth=1
	v_ashrrev_i32_e32 v3, 31, v2
	v_lshlrev_b64 v[8:9], 2, v[2:3]
	s_or_b64 s[10:11], s[10:11], exec
	v_add_co_u32_e32 v8, vcc, s6, v8
	v_addc_co_u32_e32 v9, vcc, v7, v9, vcc
	global_load_dword v3, v[8:9], off
	s_waitcnt vmcnt(0)
	v_subrev_u32_e32 v3, s12, v3
	v_cmp_lt_i32_e32 vcc, -1, v3
	v_cmp_gt_i32_e64 s[0:1], s9, v3
	s_and_b64 s[14:15], vcc, s[0:1]
                                        ; implicit-def: $vgpr3
	s_and_saveexec_b64 s[0:1], s[14:15]
	s_cbranch_execz .LBB0_4
; %bb.6:                                ;   in Loop: Header=BB0_5 Depth=1
	v_add_u32_e32 v6, -1, v6
	v_cmp_eq_u32_e32 vcc, 0, v6
	s_andn2_b64 s[10:11], s[10:11], exec
	s_and_b64 s[14:15], vcc, exec
	v_add_u32_e32 v3, 1, v5
	v_add_u32_e32 v2, s8, v2
	s_or_b64 s[10:11], s[10:11], s[14:15]
	v_mov_b32_e32 v5, v4
	s_branch .LBB0_4
.LBB0_7:
	s_or_b64 exec, exec, s[4:5]
	s_branch .LBB0_10
.LBB0_8:
	v_mov_b32_e32 v5, 0
	s_min_i32 s0, s10, s11
	s_cmp_lt_i32 s0, 1
	s_cbranch_scc0 .LBB0_3
.LBB0_9:
	v_mov_b32_e32 v8, v5
.LBB0_10:
	v_lshlrev_b64 v[0:1], 2, v[0:1]
	v_mov_b32_e32 v2, s3
	v_add_co_u32_e32 v0, vcc, s2, v0
	v_addc_co_u32_e32 v1, vcc, v2, v1, vcc
	global_store_dword v[0:1], v8, off
.LBB0_11:
	s_endpgm
	.section	.rodata,"a",@progbits
	.p2align	6, 0x0
	.amdhsa_kernel _ZN9rocsparseL18hyb2csr_nnz_kernelILj256EEEviiiiPKiiS2_Pi21rocsparse_index_base_
		.amdhsa_group_segment_fixed_size 0
		.amdhsa_private_segment_fixed_size 0
		.amdhsa_kernarg_size 52
		.amdhsa_user_sgpr_count 6
		.amdhsa_user_sgpr_private_segment_buffer 1
		.amdhsa_user_sgpr_dispatch_ptr 0
		.amdhsa_user_sgpr_queue_ptr 0
		.amdhsa_user_sgpr_kernarg_segment_ptr 1
		.amdhsa_user_sgpr_dispatch_id 0
		.amdhsa_user_sgpr_flat_scratch_init 0
		.amdhsa_user_sgpr_private_segment_size 0
		.amdhsa_uses_dynamic_stack 0
		.amdhsa_system_sgpr_private_segment_wavefront_offset 0
		.amdhsa_system_sgpr_workgroup_id_x 1
		.amdhsa_system_sgpr_workgroup_id_y 0
		.amdhsa_system_sgpr_workgroup_id_z 0
		.amdhsa_system_sgpr_workgroup_info 0
		.amdhsa_system_vgpr_workitem_id 0
		.amdhsa_next_free_vgpr 10
		.amdhsa_next_free_sgpr 16
		.amdhsa_reserve_vcc 1
		.amdhsa_reserve_flat_scratch 0
		.amdhsa_float_round_mode_32 0
		.amdhsa_float_round_mode_16_64 0
		.amdhsa_float_denorm_mode_32 3
		.amdhsa_float_denorm_mode_16_64 3
		.amdhsa_dx10_clamp 1
		.amdhsa_ieee_mode 1
		.amdhsa_fp16_overflow 0
		.amdhsa_exception_fp_ieee_invalid_op 0
		.amdhsa_exception_fp_denorm_src 0
		.amdhsa_exception_fp_ieee_div_zero 0
		.amdhsa_exception_fp_ieee_overflow 0
		.amdhsa_exception_fp_ieee_underflow 0
		.amdhsa_exception_fp_ieee_inexact 0
		.amdhsa_exception_int_div_zero 0
	.end_amdhsa_kernel
	.section	.text._ZN9rocsparseL18hyb2csr_nnz_kernelILj256EEEviiiiPKiiS2_Pi21rocsparse_index_base_,"axG",@progbits,_ZN9rocsparseL18hyb2csr_nnz_kernelILj256EEEviiiiPKiiS2_Pi21rocsparse_index_base_,comdat
.Lfunc_end0:
	.size	_ZN9rocsparseL18hyb2csr_nnz_kernelILj256EEEviiiiPKiiS2_Pi21rocsparse_index_base_, .Lfunc_end0-_ZN9rocsparseL18hyb2csr_nnz_kernelILj256EEEviiiiPKiiS2_Pi21rocsparse_index_base_
                                        ; -- End function
	.set _ZN9rocsparseL18hyb2csr_nnz_kernelILj256EEEviiiiPKiiS2_Pi21rocsparse_index_base_.num_vgpr, 10
	.set _ZN9rocsparseL18hyb2csr_nnz_kernelILj256EEEviiiiPKiiS2_Pi21rocsparse_index_base_.num_agpr, 0
	.set _ZN9rocsparseL18hyb2csr_nnz_kernelILj256EEEviiiiPKiiS2_Pi21rocsparse_index_base_.numbered_sgpr, 16
	.set _ZN9rocsparseL18hyb2csr_nnz_kernelILj256EEEviiiiPKiiS2_Pi21rocsparse_index_base_.num_named_barrier, 0
	.set _ZN9rocsparseL18hyb2csr_nnz_kernelILj256EEEviiiiPKiiS2_Pi21rocsparse_index_base_.private_seg_size, 0
	.set _ZN9rocsparseL18hyb2csr_nnz_kernelILj256EEEviiiiPKiiS2_Pi21rocsparse_index_base_.uses_vcc, 1
	.set _ZN9rocsparseL18hyb2csr_nnz_kernelILj256EEEviiiiPKiiS2_Pi21rocsparse_index_base_.uses_flat_scratch, 0
	.set _ZN9rocsparseL18hyb2csr_nnz_kernelILj256EEEviiiiPKiiS2_Pi21rocsparse_index_base_.has_dyn_sized_stack, 0
	.set _ZN9rocsparseL18hyb2csr_nnz_kernelILj256EEEviiiiPKiiS2_Pi21rocsparse_index_base_.has_recursion, 0
	.set _ZN9rocsparseL18hyb2csr_nnz_kernelILj256EEEviiiiPKiiS2_Pi21rocsparse_index_base_.has_indirect_call, 0
	.section	.AMDGPU.csdata,"",@progbits
; Kernel info:
; codeLenInByte = 344
; TotalNumSgprs: 20
; NumVgprs: 10
; ScratchSize: 0
; MemoryBound: 0
; FloatMode: 240
; IeeeMode: 1
; LDSByteSize: 0 bytes/workgroup (compile time only)
; SGPRBlocks: 2
; VGPRBlocks: 2
; NumSGPRsForWavesPerEU: 20
; NumVGPRsForWavesPerEU: 10
; Occupancy: 10
; WaveLimiterHint : 0
; COMPUTE_PGM_RSRC2:SCRATCH_EN: 0
; COMPUTE_PGM_RSRC2:USER_SGPR: 6
; COMPUTE_PGM_RSRC2:TRAP_HANDLER: 0
; COMPUTE_PGM_RSRC2:TGID_X_EN: 1
; COMPUTE_PGM_RSRC2:TGID_Y_EN: 0
; COMPUTE_PGM_RSRC2:TGID_Z_EN: 0
; COMPUTE_PGM_RSRC2:TIDIG_COMP_CNT: 0
	.section	.text._ZN9rocsparseL19hyb2csr_fill_kernelILj256EfEEviiiiPKiPKT0_iS2_S2_S5_S2_PiPS3_21rocsparse_index_base_,"axG",@progbits,_ZN9rocsparseL19hyb2csr_fill_kernelILj256EfEEviiiiPKiPKT0_iS2_S2_S5_S2_PiPS3_21rocsparse_index_base_,comdat
	.globl	_ZN9rocsparseL19hyb2csr_fill_kernelILj256EfEEviiiiPKiPKT0_iS2_S2_S5_S2_PiPS3_21rocsparse_index_base_ ; -- Begin function _ZN9rocsparseL19hyb2csr_fill_kernelILj256EfEEviiiiPKiPKT0_iS2_S2_S5_S2_PiPS3_21rocsparse_index_base_
	.p2align	8
	.type	_ZN9rocsparseL19hyb2csr_fill_kernelILj256EfEEviiiiPKiPKT0_iS2_S2_S5_S2_PiPS3_21rocsparse_index_base_,@function
_ZN9rocsparseL19hyb2csr_fill_kernelILj256EfEEviiiiPKiPKT0_iS2_S2_S5_S2_PiPS3_21rocsparse_index_base_: ; @_ZN9rocsparseL19hyb2csr_fill_kernelILj256EfEEviiiiPKiPKT0_iS2_S2_S5_S2_PiPS3_21rocsparse_index_base_
; %bb.0:
	s_load_dwordx4 s[20:23], s[4:5], 0x0
	v_lshl_or_b32 v4, s6, 8, v0
	s_waitcnt lgkmcnt(0)
	v_cmp_gt_i32_e32 vcc, s20, v4
	s_and_saveexec_b64 s[0:1], vcc
	s_cbranch_execz .LBB1_11
; %bb.1:
	s_load_dwordx8 s[8:15], s[4:5], 0x28
	v_ashrrev_i32_e32 v5, 31, v4
	v_lshlrev_b64 v[2:3], 2, v[4:5]
	s_min_i32 s0, s22, s23
	s_cmp_lt_i32 s0, 1
	s_waitcnt lgkmcnt(0)
	v_mov_b32_e32 v1, s15
	v_add_co_u32_e32 v0, vcc, s14, v2
	v_addc_co_u32_e32 v1, vcc, v1, v3, vcc
	global_load_dword v0, v[0:1], off
	s_load_dword s14, s[4:5], 0x58
	s_load_dwordx4 s[16:19], s[4:5], 0x48
	s_waitcnt vmcnt(0) lgkmcnt(0)
	v_subrev_u32_e32 v0, s14, v0
	s_cbranch_scc1 .LBB1_7
; %bb.2:
	s_load_dwordx4 s[24:27], s[4:5], 0x10
	s_add_i32 s0, s23, -1
	s_add_i32 s15, s14, s21
	s_mov_b64 s[2:3], 0
	v_mov_b32_e32 v7, s0
	s_waitcnt lgkmcnt(0)
	v_mov_b32_e32 v8, s25
	s_branch .LBB1_4
.LBB1_3:                                ;   in Loop: Header=BB1_4 Depth=1
	s_or_b64 exec, exec, s[6:7]
	v_subrev_co_u32_e32 v7, vcc, 1, v7
	s_or_b64 s[0:1], s[0:1], vcc
	s_and_b64 s[0:1], exec, s[0:1]
	s_or_b64 s[2:3], s[0:1], s[2:3]
	v_add_u32_e32 v4, s20, v4
	s_andn2_b64 exec, exec, s[2:3]
	s_cbranch_execz .LBB1_6
.LBB1_4:                                ; =>This Inner Loop Header: Depth=1
	v_ashrrev_i32_e32 v5, 31, v4
	v_lshlrev_b64 v[5:6], 2, v[4:5]
	v_add_co_u32_e32 v9, vcc, s24, v5
	v_addc_co_u32_e32 v10, vcc, v8, v6, vcc
	global_load_dword v9, v[9:10], off
	s_waitcnt vmcnt(0)
	v_cmp_gt_i32_e32 vcc, s14, v9
	v_cmp_le_i32_e64 s[0:1], s15, v9
	s_or_b64 s[0:1], vcc, s[0:1]
	s_xor_b64 s[22:23], s[0:1], -1
	s_and_saveexec_b64 s[6:7], s[22:23]
	s_cbranch_execz .LBB1_3
; %bb.5:                                ;   in Loop: Header=BB1_4 Depth=1
	v_mov_b32_e32 v1, s27
	v_add_co_u32_e32 v5, vcc, s26, v5
	v_addc_co_u32_e32 v6, vcc, v1, v6, vcc
	global_load_dword v10, v[5:6], off
	v_ashrrev_i32_e32 v1, 31, v0
	v_add_u32_e32 v11, 1, v0
	v_lshlrev_b64 v[0:1], 2, v[0:1]
	v_mov_b32_e32 v6, s19
	v_add_co_u32_e32 v5, vcc, s18, v0
	v_addc_co_u32_e32 v6, vcc, v6, v1, vcc
	v_mov_b32_e32 v12, s17
	v_add_co_u32_e32 v0, vcc, s16, v0
	v_addc_co_u32_e32 v1, vcc, v12, v1, vcc
	global_store_dword v[0:1], v9, off
	s_waitcnt vmcnt(1)
	global_store_dword v[5:6], v10, off
	v_mov_b32_e32 v0, v11
	s_branch .LBB1_3
.LBB1_6:
	s_or_b64 exec, exec, s[2:3]
.LBB1_7:
	s_load_dword s0, s[4:5], 0x20
	s_waitcnt lgkmcnt(0)
	s_cmp_lt_i32 s0, 1
	s_cbranch_scc1 .LBB1_11
; %bb.8:
	v_mov_b32_e32 v4, s9
	v_add_co_u32_e32 v1, vcc, s8, v2
	v_addc_co_u32_e32 v2, vcc, v4, v3, vcc
	global_load_dwordx2 v[1:2], v[1:2], off
	s_waitcnt vmcnt(0)
	v_cmp_lt_i32_e32 vcc, v1, v2
	s_and_b64 exec, exec, vcc
	s_cbranch_execz .LBB1_11
; %bb.9:
	v_subrev_u32_e32 v9, s14, v2
	v_subrev_u32_e32 v2, s14, v1
	v_ashrrev_i32_e32 v3, 31, v2
	v_lshlrev_b64 v[5:6], 2, v[2:3]
	v_mov_b32_e32 v1, s11
	v_add_co_u32_e32 v3, vcc, s10, v5
	v_addc_co_u32_e32 v4, vcc, v1, v6, vcc
	v_mov_b32_e32 v1, s13
	v_add_co_u32_e32 v5, vcc, s12, v5
	v_addc_co_u32_e32 v6, vcc, v1, v6, vcc
	v_ashrrev_i32_e32 v1, 31, v0
	v_lshlrev_b64 v[7:8], 2, v[0:1]
	v_mov_b32_e32 v1, s17
	v_add_co_u32_e32 v0, vcc, s16, v7
	v_addc_co_u32_e32 v1, vcc, v1, v8, vcc
	v_mov_b32_e32 v10, s19
	v_add_co_u32_e32 v7, vcc, s18, v7
	v_addc_co_u32_e32 v8, vcc, v10, v8, vcc
	s_mov_b64 s[0:1], 0
.LBB1_10:                               ; =>This Inner Loop Header: Depth=1
	global_load_dword v10, v[3:4], off
	global_load_dword v11, v[5:6], off
	v_add_co_u32_e32 v3, vcc, 4, v3
	v_addc_co_u32_e32 v4, vcc, 0, v4, vcc
	v_add_co_u32_e32 v5, vcc, 4, v5
	v_add_u32_e32 v2, 1, v2
	v_addc_co_u32_e32 v6, vcc, 0, v6, vcc
	v_cmp_ge_i32_e32 vcc, v2, v9
	s_or_b64 s[0:1], vcc, s[0:1]
	s_waitcnt vmcnt(1)
	global_store_dword v[0:1], v10, off
	s_waitcnt vmcnt(1)
	global_store_dword v[7:8], v11, off
	v_add_co_u32_e32 v0, vcc, 4, v0
	v_addc_co_u32_e32 v1, vcc, 0, v1, vcc
	v_add_co_u32_e32 v7, vcc, 4, v7
	v_addc_co_u32_e32 v8, vcc, 0, v8, vcc
	s_andn2_b64 exec, exec, s[0:1]
	s_cbranch_execnz .LBB1_10
.LBB1_11:
	s_endpgm
	.section	.rodata,"a",@progbits
	.p2align	6, 0x0
	.amdhsa_kernel _ZN9rocsparseL19hyb2csr_fill_kernelILj256EfEEviiiiPKiPKT0_iS2_S2_S5_S2_PiPS3_21rocsparse_index_base_
		.amdhsa_group_segment_fixed_size 0
		.amdhsa_private_segment_fixed_size 0
		.amdhsa_kernarg_size 92
		.amdhsa_user_sgpr_count 6
		.amdhsa_user_sgpr_private_segment_buffer 1
		.amdhsa_user_sgpr_dispatch_ptr 0
		.amdhsa_user_sgpr_queue_ptr 0
		.amdhsa_user_sgpr_kernarg_segment_ptr 1
		.amdhsa_user_sgpr_dispatch_id 0
		.amdhsa_user_sgpr_flat_scratch_init 0
		.amdhsa_user_sgpr_private_segment_size 0
		.amdhsa_uses_dynamic_stack 0
		.amdhsa_system_sgpr_private_segment_wavefront_offset 0
		.amdhsa_system_sgpr_workgroup_id_x 1
		.amdhsa_system_sgpr_workgroup_id_y 0
		.amdhsa_system_sgpr_workgroup_id_z 0
		.amdhsa_system_sgpr_workgroup_info 0
		.amdhsa_system_vgpr_workitem_id 0
		.amdhsa_next_free_vgpr 13
		.amdhsa_next_free_sgpr 28
		.amdhsa_reserve_vcc 1
		.amdhsa_reserve_flat_scratch 0
		.amdhsa_float_round_mode_32 0
		.amdhsa_float_round_mode_16_64 0
		.amdhsa_float_denorm_mode_32 3
		.amdhsa_float_denorm_mode_16_64 3
		.amdhsa_dx10_clamp 1
		.amdhsa_ieee_mode 1
		.amdhsa_fp16_overflow 0
		.amdhsa_exception_fp_ieee_invalid_op 0
		.amdhsa_exception_fp_denorm_src 0
		.amdhsa_exception_fp_ieee_div_zero 0
		.amdhsa_exception_fp_ieee_overflow 0
		.amdhsa_exception_fp_ieee_underflow 0
		.amdhsa_exception_fp_ieee_inexact 0
		.amdhsa_exception_int_div_zero 0
	.end_amdhsa_kernel
	.section	.text._ZN9rocsparseL19hyb2csr_fill_kernelILj256EfEEviiiiPKiPKT0_iS2_S2_S5_S2_PiPS3_21rocsparse_index_base_,"axG",@progbits,_ZN9rocsparseL19hyb2csr_fill_kernelILj256EfEEviiiiPKiPKT0_iS2_S2_S5_S2_PiPS3_21rocsparse_index_base_,comdat
.Lfunc_end1:
	.size	_ZN9rocsparseL19hyb2csr_fill_kernelILj256EfEEviiiiPKiPKT0_iS2_S2_S5_S2_PiPS3_21rocsparse_index_base_, .Lfunc_end1-_ZN9rocsparseL19hyb2csr_fill_kernelILj256EfEEviiiiPKiPKT0_iS2_S2_S5_S2_PiPS3_21rocsparse_index_base_
                                        ; -- End function
	.set _ZN9rocsparseL19hyb2csr_fill_kernelILj256EfEEviiiiPKiPKT0_iS2_S2_S5_S2_PiPS3_21rocsparse_index_base_.num_vgpr, 13
	.set _ZN9rocsparseL19hyb2csr_fill_kernelILj256EfEEviiiiPKiPKT0_iS2_S2_S5_S2_PiPS3_21rocsparse_index_base_.num_agpr, 0
	.set _ZN9rocsparseL19hyb2csr_fill_kernelILj256EfEEviiiiPKiPKT0_iS2_S2_S5_S2_PiPS3_21rocsparse_index_base_.numbered_sgpr, 28
	.set _ZN9rocsparseL19hyb2csr_fill_kernelILj256EfEEviiiiPKiPKT0_iS2_S2_S5_S2_PiPS3_21rocsparse_index_base_.num_named_barrier, 0
	.set _ZN9rocsparseL19hyb2csr_fill_kernelILj256EfEEviiiiPKiPKT0_iS2_S2_S5_S2_PiPS3_21rocsparse_index_base_.private_seg_size, 0
	.set _ZN9rocsparseL19hyb2csr_fill_kernelILj256EfEEviiiiPKiPKT0_iS2_S2_S5_S2_PiPS3_21rocsparse_index_base_.uses_vcc, 1
	.set _ZN9rocsparseL19hyb2csr_fill_kernelILj256EfEEviiiiPKiPKT0_iS2_S2_S5_S2_PiPS3_21rocsparse_index_base_.uses_flat_scratch, 0
	.set _ZN9rocsparseL19hyb2csr_fill_kernelILj256EfEEviiiiPKiPKT0_iS2_S2_S5_S2_PiPS3_21rocsparse_index_base_.has_dyn_sized_stack, 0
	.set _ZN9rocsparseL19hyb2csr_fill_kernelILj256EfEEviiiiPKiPKT0_iS2_S2_S5_S2_PiPS3_21rocsparse_index_base_.has_recursion, 0
	.set _ZN9rocsparseL19hyb2csr_fill_kernelILj256EfEEviiiiPKiPKT0_iS2_S2_S5_S2_PiPS3_21rocsparse_index_base_.has_indirect_call, 0
	.section	.AMDGPU.csdata,"",@progbits
; Kernel info:
; codeLenInByte = 568
; TotalNumSgprs: 32
; NumVgprs: 13
; ScratchSize: 0
; MemoryBound: 0
; FloatMode: 240
; IeeeMode: 1
; LDSByteSize: 0 bytes/workgroup (compile time only)
; SGPRBlocks: 3
; VGPRBlocks: 3
; NumSGPRsForWavesPerEU: 32
; NumVGPRsForWavesPerEU: 13
; Occupancy: 10
; WaveLimiterHint : 0
; COMPUTE_PGM_RSRC2:SCRATCH_EN: 0
; COMPUTE_PGM_RSRC2:USER_SGPR: 6
; COMPUTE_PGM_RSRC2:TRAP_HANDLER: 0
; COMPUTE_PGM_RSRC2:TGID_X_EN: 1
; COMPUTE_PGM_RSRC2:TGID_Y_EN: 0
; COMPUTE_PGM_RSRC2:TGID_Z_EN: 0
; COMPUTE_PGM_RSRC2:TIDIG_COMP_CNT: 0
	.section	.text._ZN9rocsparseL19hyb2csr_fill_kernelILj256EdEEviiiiPKiPKT0_iS2_S2_S5_S2_PiPS3_21rocsparse_index_base_,"axG",@progbits,_ZN9rocsparseL19hyb2csr_fill_kernelILj256EdEEviiiiPKiPKT0_iS2_S2_S5_S2_PiPS3_21rocsparse_index_base_,comdat
	.globl	_ZN9rocsparseL19hyb2csr_fill_kernelILj256EdEEviiiiPKiPKT0_iS2_S2_S5_S2_PiPS3_21rocsparse_index_base_ ; -- Begin function _ZN9rocsparseL19hyb2csr_fill_kernelILj256EdEEviiiiPKiPKT0_iS2_S2_S5_S2_PiPS3_21rocsparse_index_base_
	.p2align	8
	.type	_ZN9rocsparseL19hyb2csr_fill_kernelILj256EdEEviiiiPKiPKT0_iS2_S2_S5_S2_PiPS3_21rocsparse_index_base_,@function
_ZN9rocsparseL19hyb2csr_fill_kernelILj256EdEEviiiiPKiPKT0_iS2_S2_S5_S2_PiPS3_21rocsparse_index_base_: ; @_ZN9rocsparseL19hyb2csr_fill_kernelILj256EdEEviiiiPKiPKT0_iS2_S2_S5_S2_PiPS3_21rocsparse_index_base_
; %bb.0:
	s_load_dwordx4 s[20:23], s[4:5], 0x0
	v_lshl_or_b32 v4, s6, 8, v0
	s_waitcnt lgkmcnt(0)
	v_cmp_gt_i32_e32 vcc, s20, v4
	s_and_saveexec_b64 s[0:1], vcc
	s_cbranch_execz .LBB2_11
; %bb.1:
	s_load_dwordx8 s[8:15], s[4:5], 0x28
	v_ashrrev_i32_e32 v5, 31, v4
	v_lshlrev_b64 v[2:3], 2, v[4:5]
	s_min_i32 s0, s22, s23
	s_cmp_lt_i32 s0, 1
	s_waitcnt lgkmcnt(0)
	v_mov_b32_e32 v1, s15
	v_add_co_u32_e32 v0, vcc, s14, v2
	v_addc_co_u32_e32 v1, vcc, v1, v3, vcc
	global_load_dword v0, v[0:1], off
	s_load_dword s14, s[4:5], 0x58
	s_load_dwordx4 s[16:19], s[4:5], 0x48
	s_waitcnt vmcnt(0) lgkmcnt(0)
	v_subrev_u32_e32 v0, s14, v0
	s_cbranch_scc1 .LBB2_7
; %bb.2:
	s_load_dwordx4 s[24:27], s[4:5], 0x10
	s_add_i32 s0, s23, -1
	s_add_i32 s15, s14, s21
	s_mov_b64 s[2:3], 0
	v_mov_b32_e32 v6, s0
	s_waitcnt lgkmcnt(0)
	v_mov_b32_e32 v7, s25
	s_branch .LBB2_4
.LBB2_3:                                ;   in Loop: Header=BB2_4 Depth=1
	s_or_b64 exec, exec, s[6:7]
	v_subrev_co_u32_e32 v6, vcc, 1, v6
	s_or_b64 s[0:1], s[0:1], vcc
	s_and_b64 s[0:1], exec, s[0:1]
	s_or_b64 s[2:3], s[0:1], s[2:3]
	v_add_u32_e32 v4, s20, v4
	s_andn2_b64 exec, exec, s[2:3]
	s_cbranch_execz .LBB2_6
.LBB2_4:                                ; =>This Inner Loop Header: Depth=1
	v_ashrrev_i32_e32 v5, 31, v4
	v_lshlrev_b64 v[8:9], 2, v[4:5]
	v_add_co_u32_e32 v8, vcc, s24, v8
	v_addc_co_u32_e32 v9, vcc, v7, v9, vcc
	global_load_dword v8, v[8:9], off
	s_waitcnt vmcnt(0)
	v_cmp_gt_i32_e32 vcc, s14, v8
	v_cmp_le_i32_e64 s[0:1], s15, v8
	s_or_b64 s[0:1], vcc, s[0:1]
	s_xor_b64 s[22:23], s[0:1], -1
	s_and_saveexec_b64 s[6:7], s[22:23]
	s_cbranch_execz .LBB2_3
; %bb.5:                                ;   in Loop: Header=BB2_4 Depth=1
	v_lshlrev_b64 v[9:10], 3, v[4:5]
	v_mov_b32_e32 v1, s27
	v_add_co_u32_e32 v9, vcc, s26, v9
	v_addc_co_u32_e32 v10, vcc, v1, v10, vcc
	global_load_dwordx2 v[9:10], v[9:10], off
	v_ashrrev_i32_e32 v1, 31, v0
	v_lshlrev_b64 v[11:12], 3, v[0:1]
	v_add_u32_e32 v5, 1, v0
	v_mov_b32_e32 v13, s19
	v_lshlrev_b64 v[0:1], 2, v[0:1]
	v_add_co_u32_e32 v11, vcc, s18, v11
	v_addc_co_u32_e32 v12, vcc, v13, v12, vcc
	v_mov_b32_e32 v14, s17
	v_add_co_u32_e32 v0, vcc, s16, v0
	v_addc_co_u32_e32 v1, vcc, v14, v1, vcc
	global_store_dword v[0:1], v8, off
	s_waitcnt vmcnt(1)
	global_store_dwordx2 v[11:12], v[9:10], off
	v_mov_b32_e32 v0, v5
	s_branch .LBB2_3
.LBB2_6:
	s_or_b64 exec, exec, s[2:3]
.LBB2_7:
	s_load_dword s0, s[4:5], 0x20
	s_waitcnt lgkmcnt(0)
	s_cmp_lt_i32 s0, 1
	s_cbranch_scc1 .LBB2_11
; %bb.8:
	v_mov_b32_e32 v4, s9
	v_add_co_u32_e32 v1, vcc, s8, v2
	v_addc_co_u32_e32 v2, vcc, v4, v3, vcc
	global_load_dwordx2 v[1:2], v[1:2], off
	s_waitcnt vmcnt(0)
	v_cmp_lt_i32_e32 vcc, v1, v2
	s_and_b64 exec, exec, vcc
	s_cbranch_execz .LBB2_11
; %bb.9:
	v_subrev_u32_e32 v10, s14, v2
	v_subrev_u32_e32 v2, s14, v1
	v_ashrrev_i32_e32 v3, 31, v2
	v_lshlrev_b64 v[4:5], 2, v[2:3]
	v_mov_b32_e32 v1, s11
	v_add_co_u32_e32 v4, vcc, s10, v4
	v_lshlrev_b64 v[6:7], 3, v[2:3]
	v_addc_co_u32_e32 v5, vcc, v1, v5, vcc
	v_mov_b32_e32 v1, s13
	v_add_co_u32_e32 v6, vcc, s12, v6
	v_addc_co_u32_e32 v7, vcc, v1, v7, vcc
	v_ashrrev_i32_e32 v1, 31, v0
	v_lshlrev_b64 v[8:9], 2, v[0:1]
	v_mov_b32_e32 v3, s17
	v_add_co_u32_e32 v8, vcc, s16, v8
	v_lshlrev_b64 v[0:1], 3, v[0:1]
	v_addc_co_u32_e32 v9, vcc, v3, v9, vcc
	v_mov_b32_e32 v3, s19
	v_add_co_u32_e32 v0, vcc, s18, v0
	v_addc_co_u32_e32 v1, vcc, v3, v1, vcc
	s_mov_b64 s[0:1], 0
.LBB2_10:                               ; =>This Inner Loop Header: Depth=1
	global_load_dword v3, v[4:5], off
	global_load_dwordx2 v[11:12], v[6:7], off
	v_add_co_u32_e32 v4, vcc, 4, v4
	v_addc_co_u32_e32 v5, vcc, 0, v5, vcc
	v_add_co_u32_e32 v6, vcc, 8, v6
	v_add_u32_e32 v2, 1, v2
	v_addc_co_u32_e32 v7, vcc, 0, v7, vcc
	v_cmp_ge_i32_e32 vcc, v2, v10
	s_or_b64 s[0:1], vcc, s[0:1]
	s_waitcnt vmcnt(1)
	global_store_dword v[8:9], v3, off
	s_waitcnt vmcnt(1)
	global_store_dwordx2 v[0:1], v[11:12], off
	v_add_co_u32_e32 v8, vcc, 4, v8
	v_addc_co_u32_e32 v9, vcc, 0, v9, vcc
	v_add_co_u32_e32 v0, vcc, 8, v0
	v_addc_co_u32_e32 v1, vcc, 0, v1, vcc
	s_andn2_b64 exec, exec, s[0:1]
	s_cbranch_execnz .LBB2_10
.LBB2_11:
	s_endpgm
	.section	.rodata,"a",@progbits
	.p2align	6, 0x0
	.amdhsa_kernel _ZN9rocsparseL19hyb2csr_fill_kernelILj256EdEEviiiiPKiPKT0_iS2_S2_S5_S2_PiPS3_21rocsparse_index_base_
		.amdhsa_group_segment_fixed_size 0
		.amdhsa_private_segment_fixed_size 0
		.amdhsa_kernarg_size 92
		.amdhsa_user_sgpr_count 6
		.amdhsa_user_sgpr_private_segment_buffer 1
		.amdhsa_user_sgpr_dispatch_ptr 0
		.amdhsa_user_sgpr_queue_ptr 0
		.amdhsa_user_sgpr_kernarg_segment_ptr 1
		.amdhsa_user_sgpr_dispatch_id 0
		.amdhsa_user_sgpr_flat_scratch_init 0
		.amdhsa_user_sgpr_private_segment_size 0
		.amdhsa_uses_dynamic_stack 0
		.amdhsa_system_sgpr_private_segment_wavefront_offset 0
		.amdhsa_system_sgpr_workgroup_id_x 1
		.amdhsa_system_sgpr_workgroup_id_y 0
		.amdhsa_system_sgpr_workgroup_id_z 0
		.amdhsa_system_sgpr_workgroup_info 0
		.amdhsa_system_vgpr_workitem_id 0
		.amdhsa_next_free_vgpr 15
		.amdhsa_next_free_sgpr 28
		.amdhsa_reserve_vcc 1
		.amdhsa_reserve_flat_scratch 0
		.amdhsa_float_round_mode_32 0
		.amdhsa_float_round_mode_16_64 0
		.amdhsa_float_denorm_mode_32 3
		.amdhsa_float_denorm_mode_16_64 3
		.amdhsa_dx10_clamp 1
		.amdhsa_ieee_mode 1
		.amdhsa_fp16_overflow 0
		.amdhsa_exception_fp_ieee_invalid_op 0
		.amdhsa_exception_fp_denorm_src 0
		.amdhsa_exception_fp_ieee_div_zero 0
		.amdhsa_exception_fp_ieee_overflow 0
		.amdhsa_exception_fp_ieee_underflow 0
		.amdhsa_exception_fp_ieee_inexact 0
		.amdhsa_exception_int_div_zero 0
	.end_amdhsa_kernel
	.section	.text._ZN9rocsparseL19hyb2csr_fill_kernelILj256EdEEviiiiPKiPKT0_iS2_S2_S5_S2_PiPS3_21rocsparse_index_base_,"axG",@progbits,_ZN9rocsparseL19hyb2csr_fill_kernelILj256EdEEviiiiPKiPKT0_iS2_S2_S5_S2_PiPS3_21rocsparse_index_base_,comdat
.Lfunc_end2:
	.size	_ZN9rocsparseL19hyb2csr_fill_kernelILj256EdEEviiiiPKiPKT0_iS2_S2_S5_S2_PiPS3_21rocsparse_index_base_, .Lfunc_end2-_ZN9rocsparseL19hyb2csr_fill_kernelILj256EdEEviiiiPKiPKT0_iS2_S2_S5_S2_PiPS3_21rocsparse_index_base_
                                        ; -- End function
	.set _ZN9rocsparseL19hyb2csr_fill_kernelILj256EdEEviiiiPKiPKT0_iS2_S2_S5_S2_PiPS3_21rocsparse_index_base_.num_vgpr, 15
	.set _ZN9rocsparseL19hyb2csr_fill_kernelILj256EdEEviiiiPKiPKT0_iS2_S2_S5_S2_PiPS3_21rocsparse_index_base_.num_agpr, 0
	.set _ZN9rocsparseL19hyb2csr_fill_kernelILj256EdEEviiiiPKiPKT0_iS2_S2_S5_S2_PiPS3_21rocsparse_index_base_.numbered_sgpr, 28
	.set _ZN9rocsparseL19hyb2csr_fill_kernelILj256EdEEviiiiPKiPKT0_iS2_S2_S5_S2_PiPS3_21rocsparse_index_base_.num_named_barrier, 0
	.set _ZN9rocsparseL19hyb2csr_fill_kernelILj256EdEEviiiiPKiPKT0_iS2_S2_S5_S2_PiPS3_21rocsparse_index_base_.private_seg_size, 0
	.set _ZN9rocsparseL19hyb2csr_fill_kernelILj256EdEEviiiiPKiPKT0_iS2_S2_S5_S2_PiPS3_21rocsparse_index_base_.uses_vcc, 1
	.set _ZN9rocsparseL19hyb2csr_fill_kernelILj256EdEEviiiiPKiPKT0_iS2_S2_S5_S2_PiPS3_21rocsparse_index_base_.uses_flat_scratch, 0
	.set _ZN9rocsparseL19hyb2csr_fill_kernelILj256EdEEviiiiPKiPKT0_iS2_S2_S5_S2_PiPS3_21rocsparse_index_base_.has_dyn_sized_stack, 0
	.set _ZN9rocsparseL19hyb2csr_fill_kernelILj256EdEEviiiiPKiPKT0_iS2_S2_S5_S2_PiPS3_21rocsparse_index_base_.has_recursion, 0
	.set _ZN9rocsparseL19hyb2csr_fill_kernelILj256EdEEviiiiPKiPKT0_iS2_S2_S5_S2_PiPS3_21rocsparse_index_base_.has_indirect_call, 0
	.section	.AMDGPU.csdata,"",@progbits
; Kernel info:
; codeLenInByte = 600
; TotalNumSgprs: 32
; NumVgprs: 15
; ScratchSize: 0
; MemoryBound: 0
; FloatMode: 240
; IeeeMode: 1
; LDSByteSize: 0 bytes/workgroup (compile time only)
; SGPRBlocks: 3
; VGPRBlocks: 3
; NumSGPRsForWavesPerEU: 32
; NumVGPRsForWavesPerEU: 15
; Occupancy: 10
; WaveLimiterHint : 0
; COMPUTE_PGM_RSRC2:SCRATCH_EN: 0
; COMPUTE_PGM_RSRC2:USER_SGPR: 6
; COMPUTE_PGM_RSRC2:TRAP_HANDLER: 0
; COMPUTE_PGM_RSRC2:TGID_X_EN: 1
; COMPUTE_PGM_RSRC2:TGID_Y_EN: 0
; COMPUTE_PGM_RSRC2:TGID_Z_EN: 0
; COMPUTE_PGM_RSRC2:TIDIG_COMP_CNT: 0
	.section	.text._ZN9rocsparseL19hyb2csr_fill_kernelILj256E21rocsparse_complex_numIfEEEviiiiPKiPKT0_iS4_S4_S7_S4_PiPS5_21rocsparse_index_base_,"axG",@progbits,_ZN9rocsparseL19hyb2csr_fill_kernelILj256E21rocsparse_complex_numIfEEEviiiiPKiPKT0_iS4_S4_S7_S4_PiPS5_21rocsparse_index_base_,comdat
	.globl	_ZN9rocsparseL19hyb2csr_fill_kernelILj256E21rocsparse_complex_numIfEEEviiiiPKiPKT0_iS4_S4_S7_S4_PiPS5_21rocsparse_index_base_ ; -- Begin function _ZN9rocsparseL19hyb2csr_fill_kernelILj256E21rocsparse_complex_numIfEEEviiiiPKiPKT0_iS4_S4_S7_S4_PiPS5_21rocsparse_index_base_
	.p2align	8
	.type	_ZN9rocsparseL19hyb2csr_fill_kernelILj256E21rocsparse_complex_numIfEEEviiiiPKiPKT0_iS4_S4_S7_S4_PiPS5_21rocsparse_index_base_,@function
_ZN9rocsparseL19hyb2csr_fill_kernelILj256E21rocsparse_complex_numIfEEEviiiiPKiPKT0_iS4_S4_S7_S4_PiPS5_21rocsparse_index_base_: ; @_ZN9rocsparseL19hyb2csr_fill_kernelILj256E21rocsparse_complex_numIfEEEviiiiPKiPKT0_iS4_S4_S7_S4_PiPS5_21rocsparse_index_base_
; %bb.0:
	s_load_dwordx4 s[20:23], s[4:5], 0x0
	v_lshl_or_b32 v4, s6, 8, v0
	s_waitcnt lgkmcnt(0)
	v_cmp_gt_i32_e32 vcc, s20, v4
	s_and_saveexec_b64 s[0:1], vcc
	s_cbranch_execz .LBB3_11
; %bb.1:
	s_load_dwordx8 s[8:15], s[4:5], 0x28
	v_ashrrev_i32_e32 v5, 31, v4
	v_lshlrev_b64 v[2:3], 2, v[4:5]
	s_min_i32 s0, s22, s23
	s_cmp_lt_i32 s0, 1
	s_waitcnt lgkmcnt(0)
	v_mov_b32_e32 v1, s15
	v_add_co_u32_e32 v0, vcc, s14, v2
	v_addc_co_u32_e32 v1, vcc, v1, v3, vcc
	global_load_dword v0, v[0:1], off
	s_load_dword s14, s[4:5], 0x58
	s_load_dwordx4 s[16:19], s[4:5], 0x48
	s_waitcnt vmcnt(0) lgkmcnt(0)
	v_subrev_u32_e32 v0, s14, v0
	s_cbranch_scc1 .LBB3_7
; %bb.2:
	s_load_dwordx4 s[24:27], s[4:5], 0x10
	s_add_i32 s0, s23, -1
	s_add_i32 s15, s14, s21
	s_mov_b64 s[2:3], 0
	v_mov_b32_e32 v6, s0
	s_waitcnt lgkmcnt(0)
	v_mov_b32_e32 v7, s25
	s_branch .LBB3_4
.LBB3_3:                                ;   in Loop: Header=BB3_4 Depth=1
	s_or_b64 exec, exec, s[6:7]
	v_subrev_co_u32_e32 v6, vcc, 1, v6
	s_or_b64 s[0:1], s[0:1], vcc
	s_and_b64 s[0:1], exec, s[0:1]
	s_or_b64 s[2:3], s[0:1], s[2:3]
	v_add_u32_e32 v4, s20, v4
	s_andn2_b64 exec, exec, s[2:3]
	s_cbranch_execz .LBB3_6
.LBB3_4:                                ; =>This Inner Loop Header: Depth=1
	v_ashrrev_i32_e32 v5, 31, v4
	v_lshlrev_b64 v[8:9], 2, v[4:5]
	v_add_co_u32_e32 v8, vcc, s24, v8
	v_addc_co_u32_e32 v9, vcc, v7, v9, vcc
	global_load_dword v8, v[8:9], off
	s_waitcnt vmcnt(0)
	v_cmp_gt_i32_e32 vcc, s14, v8
	v_cmp_le_i32_e64 s[0:1], s15, v8
	s_or_b64 s[0:1], vcc, s[0:1]
	s_xor_b64 s[22:23], s[0:1], -1
	s_and_saveexec_b64 s[6:7], s[22:23]
	s_cbranch_execz .LBB3_3
; %bb.5:                                ;   in Loop: Header=BB3_4 Depth=1
	v_lshlrev_b64 v[9:10], 3, v[4:5]
	v_ashrrev_i32_e32 v1, 31, v0
	v_mov_b32_e32 v5, s27
	v_add_co_u32_e32 v9, vcc, s26, v9
	v_lshlrev_b64 v[11:12], 2, v[0:1]
	v_addc_co_u32_e32 v10, vcc, v5, v10, vcc
	v_mov_b32_e32 v5, s17
	v_add_co_u32_e32 v11, vcc, s16, v11
	v_addc_co_u32_e32 v12, vcc, v5, v12, vcc
	global_store_dword v[11:12], v8, off
	global_load_dwordx2 v[8:9], v[9:10], off
	v_add_u32_e32 v5, 1, v0
	v_lshlrev_b64 v[0:1], 3, v[0:1]
	v_mov_b32_e32 v10, s19
	v_add_co_u32_e32 v0, vcc, s18, v0
	v_addc_co_u32_e32 v1, vcc, v10, v1, vcc
	s_waitcnt vmcnt(0)
	global_store_dwordx2 v[0:1], v[8:9], off
	v_mov_b32_e32 v0, v5
	s_branch .LBB3_3
.LBB3_6:
	s_or_b64 exec, exec, s[2:3]
.LBB3_7:
	s_load_dword s0, s[4:5], 0x20
	s_waitcnt lgkmcnt(0)
	s_cmp_lt_i32 s0, 1
	s_cbranch_scc1 .LBB3_11
; %bb.8:
	v_mov_b32_e32 v4, s9
	v_add_co_u32_e32 v1, vcc, s8, v2
	v_addc_co_u32_e32 v2, vcc, v4, v3, vcc
	global_load_dwordx2 v[1:2], v[1:2], off
	s_waitcnt vmcnt(0)
	v_cmp_lt_i32_e32 vcc, v1, v2
	s_and_b64 exec, exec, vcc
	s_cbranch_execz .LBB3_11
; %bb.9:
	v_subrev_u32_e32 v10, s14, v2
	v_subrev_u32_e32 v2, s14, v1
	v_ashrrev_i32_e32 v3, 31, v2
	v_lshlrev_b64 v[4:5], 2, v[2:3]
	v_mov_b32_e32 v1, s11
	v_add_co_u32_e32 v4, vcc, s10, v4
	v_lshlrev_b64 v[6:7], 3, v[2:3]
	v_addc_co_u32_e32 v5, vcc, v1, v5, vcc
	v_mov_b32_e32 v1, s13
	v_add_co_u32_e32 v6, vcc, s12, v6
	v_addc_co_u32_e32 v7, vcc, v1, v7, vcc
	v_ashrrev_i32_e32 v1, 31, v0
	v_lshlrev_b64 v[8:9], 2, v[0:1]
	v_mov_b32_e32 v3, s17
	v_add_co_u32_e32 v8, vcc, s16, v8
	v_lshlrev_b64 v[0:1], 3, v[0:1]
	v_addc_co_u32_e32 v9, vcc, v3, v9, vcc
	v_mov_b32_e32 v3, s19
	v_add_co_u32_e32 v0, vcc, s18, v0
	v_addc_co_u32_e32 v1, vcc, v3, v1, vcc
	s_mov_b64 s[0:1], 0
.LBB3_10:                               ; =>This Inner Loop Header: Depth=1
	global_load_dword v3, v[4:5], off
	v_add_co_u32_e32 v4, vcc, 4, v4
	v_add_u32_e32 v2, 1, v2
	v_addc_co_u32_e32 v5, vcc, 0, v5, vcc
	v_cmp_ge_i32_e32 vcc, v2, v10
	s_or_b64 s[0:1], vcc, s[0:1]
	s_waitcnt vmcnt(0)
	global_store_dword v[8:9], v3, off
	global_load_dwordx2 v[11:12], v[6:7], off
	v_add_co_u32_e32 v8, vcc, 4, v8
	v_addc_co_u32_e32 v9, vcc, 0, v9, vcc
	v_add_co_u32_e32 v6, vcc, 8, v6
	v_addc_co_u32_e32 v7, vcc, 0, v7, vcc
	s_waitcnt vmcnt(0)
	global_store_dwordx2 v[0:1], v[11:12], off
	v_add_co_u32_e32 v0, vcc, 8, v0
	v_addc_co_u32_e32 v1, vcc, 0, v1, vcc
	s_andn2_b64 exec, exec, s[0:1]
	s_cbranch_execnz .LBB3_10
.LBB3_11:
	s_endpgm
	.section	.rodata,"a",@progbits
	.p2align	6, 0x0
	.amdhsa_kernel _ZN9rocsparseL19hyb2csr_fill_kernelILj256E21rocsparse_complex_numIfEEEviiiiPKiPKT0_iS4_S4_S7_S4_PiPS5_21rocsparse_index_base_
		.amdhsa_group_segment_fixed_size 0
		.amdhsa_private_segment_fixed_size 0
		.amdhsa_kernarg_size 92
		.amdhsa_user_sgpr_count 6
		.amdhsa_user_sgpr_private_segment_buffer 1
		.amdhsa_user_sgpr_dispatch_ptr 0
		.amdhsa_user_sgpr_queue_ptr 0
		.amdhsa_user_sgpr_kernarg_segment_ptr 1
		.amdhsa_user_sgpr_dispatch_id 0
		.amdhsa_user_sgpr_flat_scratch_init 0
		.amdhsa_user_sgpr_private_segment_size 0
		.amdhsa_uses_dynamic_stack 0
		.amdhsa_system_sgpr_private_segment_wavefront_offset 0
		.amdhsa_system_sgpr_workgroup_id_x 1
		.amdhsa_system_sgpr_workgroup_id_y 0
		.amdhsa_system_sgpr_workgroup_id_z 0
		.amdhsa_system_sgpr_workgroup_info 0
		.amdhsa_system_vgpr_workitem_id 0
		.amdhsa_next_free_vgpr 13
		.amdhsa_next_free_sgpr 28
		.amdhsa_reserve_vcc 1
		.amdhsa_reserve_flat_scratch 0
		.amdhsa_float_round_mode_32 0
		.amdhsa_float_round_mode_16_64 0
		.amdhsa_float_denorm_mode_32 3
		.amdhsa_float_denorm_mode_16_64 3
		.amdhsa_dx10_clamp 1
		.amdhsa_ieee_mode 1
		.amdhsa_fp16_overflow 0
		.amdhsa_exception_fp_ieee_invalid_op 0
		.amdhsa_exception_fp_denorm_src 0
		.amdhsa_exception_fp_ieee_div_zero 0
		.amdhsa_exception_fp_ieee_overflow 0
		.amdhsa_exception_fp_ieee_underflow 0
		.amdhsa_exception_fp_ieee_inexact 0
		.amdhsa_exception_int_div_zero 0
	.end_amdhsa_kernel
	.section	.text._ZN9rocsparseL19hyb2csr_fill_kernelILj256E21rocsparse_complex_numIfEEEviiiiPKiPKT0_iS4_S4_S7_S4_PiPS5_21rocsparse_index_base_,"axG",@progbits,_ZN9rocsparseL19hyb2csr_fill_kernelILj256E21rocsparse_complex_numIfEEEviiiiPKiPKT0_iS4_S4_S7_S4_PiPS5_21rocsparse_index_base_,comdat
.Lfunc_end3:
	.size	_ZN9rocsparseL19hyb2csr_fill_kernelILj256E21rocsparse_complex_numIfEEEviiiiPKiPKT0_iS4_S4_S7_S4_PiPS5_21rocsparse_index_base_, .Lfunc_end3-_ZN9rocsparseL19hyb2csr_fill_kernelILj256E21rocsparse_complex_numIfEEEviiiiPKiPKT0_iS4_S4_S7_S4_PiPS5_21rocsparse_index_base_
                                        ; -- End function
	.set _ZN9rocsparseL19hyb2csr_fill_kernelILj256E21rocsparse_complex_numIfEEEviiiiPKiPKT0_iS4_S4_S7_S4_PiPS5_21rocsparse_index_base_.num_vgpr, 13
	.set _ZN9rocsparseL19hyb2csr_fill_kernelILj256E21rocsparse_complex_numIfEEEviiiiPKiPKT0_iS4_S4_S7_S4_PiPS5_21rocsparse_index_base_.num_agpr, 0
	.set _ZN9rocsparseL19hyb2csr_fill_kernelILj256E21rocsparse_complex_numIfEEEviiiiPKiPKT0_iS4_S4_S7_S4_PiPS5_21rocsparse_index_base_.numbered_sgpr, 28
	.set _ZN9rocsparseL19hyb2csr_fill_kernelILj256E21rocsparse_complex_numIfEEEviiiiPKiPKT0_iS4_S4_S7_S4_PiPS5_21rocsparse_index_base_.num_named_barrier, 0
	.set _ZN9rocsparseL19hyb2csr_fill_kernelILj256E21rocsparse_complex_numIfEEEviiiiPKiPKT0_iS4_S4_S7_S4_PiPS5_21rocsparse_index_base_.private_seg_size, 0
	.set _ZN9rocsparseL19hyb2csr_fill_kernelILj256E21rocsparse_complex_numIfEEEviiiiPKiPKT0_iS4_S4_S7_S4_PiPS5_21rocsparse_index_base_.uses_vcc, 1
	.set _ZN9rocsparseL19hyb2csr_fill_kernelILj256E21rocsparse_complex_numIfEEEviiiiPKiPKT0_iS4_S4_S7_S4_PiPS5_21rocsparse_index_base_.uses_flat_scratch, 0
	.set _ZN9rocsparseL19hyb2csr_fill_kernelILj256E21rocsparse_complex_numIfEEEviiiiPKiPKT0_iS4_S4_S7_S4_PiPS5_21rocsparse_index_base_.has_dyn_sized_stack, 0
	.set _ZN9rocsparseL19hyb2csr_fill_kernelILj256E21rocsparse_complex_numIfEEEviiiiPKiPKT0_iS4_S4_S7_S4_PiPS5_21rocsparse_index_base_.has_recursion, 0
	.set _ZN9rocsparseL19hyb2csr_fill_kernelILj256E21rocsparse_complex_numIfEEEviiiiPKiPKT0_iS4_S4_S7_S4_PiPS5_21rocsparse_index_base_.has_indirect_call, 0
	.section	.AMDGPU.csdata,"",@progbits
; Kernel info:
; codeLenInByte = 600
; TotalNumSgprs: 32
; NumVgprs: 13
; ScratchSize: 0
; MemoryBound: 0
; FloatMode: 240
; IeeeMode: 1
; LDSByteSize: 0 bytes/workgroup (compile time only)
; SGPRBlocks: 3
; VGPRBlocks: 3
; NumSGPRsForWavesPerEU: 32
; NumVGPRsForWavesPerEU: 13
; Occupancy: 10
; WaveLimiterHint : 0
; COMPUTE_PGM_RSRC2:SCRATCH_EN: 0
; COMPUTE_PGM_RSRC2:USER_SGPR: 6
; COMPUTE_PGM_RSRC2:TRAP_HANDLER: 0
; COMPUTE_PGM_RSRC2:TGID_X_EN: 1
; COMPUTE_PGM_RSRC2:TGID_Y_EN: 0
; COMPUTE_PGM_RSRC2:TGID_Z_EN: 0
; COMPUTE_PGM_RSRC2:TIDIG_COMP_CNT: 0
	.section	.text._ZN9rocsparseL19hyb2csr_fill_kernelILj256E21rocsparse_complex_numIdEEEviiiiPKiPKT0_iS4_S4_S7_S4_PiPS5_21rocsparse_index_base_,"axG",@progbits,_ZN9rocsparseL19hyb2csr_fill_kernelILj256E21rocsparse_complex_numIdEEEviiiiPKiPKT0_iS4_S4_S7_S4_PiPS5_21rocsparse_index_base_,comdat
	.globl	_ZN9rocsparseL19hyb2csr_fill_kernelILj256E21rocsparse_complex_numIdEEEviiiiPKiPKT0_iS4_S4_S7_S4_PiPS5_21rocsparse_index_base_ ; -- Begin function _ZN9rocsparseL19hyb2csr_fill_kernelILj256E21rocsparse_complex_numIdEEEviiiiPKiPKT0_iS4_S4_S7_S4_PiPS5_21rocsparse_index_base_
	.p2align	8
	.type	_ZN9rocsparseL19hyb2csr_fill_kernelILj256E21rocsparse_complex_numIdEEEviiiiPKiPKT0_iS4_S4_S7_S4_PiPS5_21rocsparse_index_base_,@function
_ZN9rocsparseL19hyb2csr_fill_kernelILj256E21rocsparse_complex_numIdEEEviiiiPKiPKT0_iS4_S4_S7_S4_PiPS5_21rocsparse_index_base_: ; @_ZN9rocsparseL19hyb2csr_fill_kernelILj256E21rocsparse_complex_numIdEEEviiiiPKiPKT0_iS4_S4_S7_S4_PiPS5_21rocsparse_index_base_
; %bb.0:
	s_load_dwordx4 s[20:23], s[4:5], 0x0
	v_lshl_or_b32 v4, s6, 8, v0
	s_waitcnt lgkmcnt(0)
	v_cmp_gt_i32_e32 vcc, s20, v4
	s_and_saveexec_b64 s[0:1], vcc
	s_cbranch_execz .LBB4_11
; %bb.1:
	s_load_dwordx8 s[8:15], s[4:5], 0x28
	v_ashrrev_i32_e32 v5, 31, v4
	v_lshlrev_b64 v[2:3], 2, v[4:5]
	s_min_i32 s0, s22, s23
	s_cmp_lt_i32 s0, 1
	s_waitcnt lgkmcnt(0)
	v_mov_b32_e32 v1, s15
	v_add_co_u32_e32 v0, vcc, s14, v2
	v_addc_co_u32_e32 v1, vcc, v1, v3, vcc
	global_load_dword v0, v[0:1], off
	s_load_dword s14, s[4:5], 0x58
	s_load_dwordx4 s[16:19], s[4:5], 0x48
	s_waitcnt vmcnt(0) lgkmcnt(0)
	v_subrev_u32_e32 v0, s14, v0
	s_cbranch_scc1 .LBB4_7
; %bb.2:
	s_load_dwordx4 s[24:27], s[4:5], 0x10
	s_add_i32 s0, s23, -1
	s_add_i32 s15, s14, s21
	s_mov_b64 s[2:3], 0
	v_mov_b32_e32 v6, s0
	s_waitcnt lgkmcnt(0)
	v_mov_b32_e32 v7, s25
	s_branch .LBB4_4
.LBB4_3:                                ;   in Loop: Header=BB4_4 Depth=1
	s_or_b64 exec, exec, s[6:7]
	v_subrev_co_u32_e32 v6, vcc, 1, v6
	s_or_b64 s[0:1], s[0:1], vcc
	s_and_b64 s[0:1], exec, s[0:1]
	s_or_b64 s[2:3], s[0:1], s[2:3]
	v_add_u32_e32 v4, s20, v4
	s_andn2_b64 exec, exec, s[2:3]
	s_cbranch_execz .LBB4_6
.LBB4_4:                                ; =>This Inner Loop Header: Depth=1
	v_ashrrev_i32_e32 v5, 31, v4
	v_lshlrev_b64 v[8:9], 2, v[4:5]
	v_add_co_u32_e32 v8, vcc, s24, v8
	v_addc_co_u32_e32 v9, vcc, v7, v9, vcc
	global_load_dword v8, v[8:9], off
	s_waitcnt vmcnt(0)
	v_cmp_gt_i32_e32 vcc, s14, v8
	v_cmp_le_i32_e64 s[0:1], s15, v8
	s_or_b64 s[0:1], vcc, s[0:1]
	s_xor_b64 s[22:23], s[0:1], -1
	s_and_saveexec_b64 s[6:7], s[22:23]
	s_cbranch_execz .LBB4_3
; %bb.5:                                ;   in Loop: Header=BB4_4 Depth=1
	v_lshlrev_b64 v[9:10], 4, v[4:5]
	v_ashrrev_i32_e32 v1, 31, v0
	v_mov_b32_e32 v5, s27
	v_add_co_u32_e32 v9, vcc, s26, v9
	v_lshlrev_b64 v[11:12], 2, v[0:1]
	v_addc_co_u32_e32 v10, vcc, v5, v10, vcc
	v_mov_b32_e32 v5, s17
	v_add_co_u32_e32 v11, vcc, s16, v11
	v_addc_co_u32_e32 v12, vcc, v5, v12, vcc
	global_store_dword v[11:12], v8, off
	global_load_dwordx4 v[8:11], v[9:10], off
	v_add_u32_e32 v5, 1, v0
	v_lshlrev_b64 v[0:1], 4, v[0:1]
	v_mov_b32_e32 v12, s19
	v_add_co_u32_e32 v0, vcc, s18, v0
	v_addc_co_u32_e32 v1, vcc, v12, v1, vcc
	s_waitcnt vmcnt(0)
	global_store_dwordx4 v[0:1], v[8:11], off
	v_mov_b32_e32 v0, v5
	s_branch .LBB4_3
.LBB4_6:
	s_or_b64 exec, exec, s[2:3]
.LBB4_7:
	s_load_dword s0, s[4:5], 0x20
	s_waitcnt lgkmcnt(0)
	s_cmp_lt_i32 s0, 1
	s_cbranch_scc1 .LBB4_11
; %bb.8:
	v_mov_b32_e32 v4, s9
	v_add_co_u32_e32 v1, vcc, s8, v2
	v_addc_co_u32_e32 v2, vcc, v4, v3, vcc
	global_load_dwordx2 v[1:2], v[1:2], off
	s_waitcnt vmcnt(0)
	v_cmp_lt_i32_e32 vcc, v1, v2
	s_and_b64 exec, exec, vcc
	s_cbranch_execz .LBB4_11
; %bb.9:
	v_subrev_u32_e32 v10, s14, v2
	v_subrev_u32_e32 v2, s14, v1
	v_ashrrev_i32_e32 v3, 31, v2
	v_lshlrev_b64 v[4:5], 2, v[2:3]
	v_mov_b32_e32 v1, s11
	v_add_co_u32_e32 v4, vcc, s10, v4
	v_lshlrev_b64 v[6:7], 4, v[2:3]
	v_addc_co_u32_e32 v5, vcc, v1, v5, vcc
	v_mov_b32_e32 v1, s13
	v_add_co_u32_e32 v6, vcc, s12, v6
	v_addc_co_u32_e32 v7, vcc, v1, v7, vcc
	v_ashrrev_i32_e32 v1, 31, v0
	v_lshlrev_b64 v[8:9], 2, v[0:1]
	v_mov_b32_e32 v3, s17
	v_add_co_u32_e32 v8, vcc, s16, v8
	v_lshlrev_b64 v[0:1], 4, v[0:1]
	v_addc_co_u32_e32 v9, vcc, v3, v9, vcc
	v_mov_b32_e32 v3, s19
	v_add_co_u32_e32 v0, vcc, s18, v0
	v_addc_co_u32_e32 v1, vcc, v3, v1, vcc
	s_mov_b64 s[0:1], 0
.LBB4_10:                               ; =>This Inner Loop Header: Depth=1
	global_load_dword v3, v[4:5], off
	v_add_co_u32_e32 v4, vcc, 4, v4
	v_add_u32_e32 v2, 1, v2
	v_addc_co_u32_e32 v5, vcc, 0, v5, vcc
	v_cmp_ge_i32_e32 vcc, v2, v10
	s_or_b64 s[0:1], vcc, s[0:1]
	s_waitcnt vmcnt(0)
	global_store_dword v[8:9], v3, off
	global_load_dwordx4 v[11:14], v[6:7], off
	v_add_co_u32_e32 v8, vcc, 4, v8
	v_addc_co_u32_e32 v9, vcc, 0, v9, vcc
	v_add_co_u32_e32 v6, vcc, 16, v6
	v_addc_co_u32_e32 v7, vcc, 0, v7, vcc
	s_waitcnt vmcnt(0)
	global_store_dwordx4 v[0:1], v[11:14], off
	v_add_co_u32_e32 v0, vcc, 16, v0
	v_addc_co_u32_e32 v1, vcc, 0, v1, vcc
	s_andn2_b64 exec, exec, s[0:1]
	s_cbranch_execnz .LBB4_10
.LBB4_11:
	s_endpgm
	.section	.rodata,"a",@progbits
	.p2align	6, 0x0
	.amdhsa_kernel _ZN9rocsparseL19hyb2csr_fill_kernelILj256E21rocsparse_complex_numIdEEEviiiiPKiPKT0_iS4_S4_S7_S4_PiPS5_21rocsparse_index_base_
		.amdhsa_group_segment_fixed_size 0
		.amdhsa_private_segment_fixed_size 0
		.amdhsa_kernarg_size 92
		.amdhsa_user_sgpr_count 6
		.amdhsa_user_sgpr_private_segment_buffer 1
		.amdhsa_user_sgpr_dispatch_ptr 0
		.amdhsa_user_sgpr_queue_ptr 0
		.amdhsa_user_sgpr_kernarg_segment_ptr 1
		.amdhsa_user_sgpr_dispatch_id 0
		.amdhsa_user_sgpr_flat_scratch_init 0
		.amdhsa_user_sgpr_private_segment_size 0
		.amdhsa_uses_dynamic_stack 0
		.amdhsa_system_sgpr_private_segment_wavefront_offset 0
		.amdhsa_system_sgpr_workgroup_id_x 1
		.amdhsa_system_sgpr_workgroup_id_y 0
		.amdhsa_system_sgpr_workgroup_id_z 0
		.amdhsa_system_sgpr_workgroup_info 0
		.amdhsa_system_vgpr_workitem_id 0
		.amdhsa_next_free_vgpr 15
		.amdhsa_next_free_sgpr 28
		.amdhsa_reserve_vcc 1
		.amdhsa_reserve_flat_scratch 0
		.amdhsa_float_round_mode_32 0
		.amdhsa_float_round_mode_16_64 0
		.amdhsa_float_denorm_mode_32 3
		.amdhsa_float_denorm_mode_16_64 3
		.amdhsa_dx10_clamp 1
		.amdhsa_ieee_mode 1
		.amdhsa_fp16_overflow 0
		.amdhsa_exception_fp_ieee_invalid_op 0
		.amdhsa_exception_fp_denorm_src 0
		.amdhsa_exception_fp_ieee_div_zero 0
		.amdhsa_exception_fp_ieee_overflow 0
		.amdhsa_exception_fp_ieee_underflow 0
		.amdhsa_exception_fp_ieee_inexact 0
		.amdhsa_exception_int_div_zero 0
	.end_amdhsa_kernel
	.section	.text._ZN9rocsparseL19hyb2csr_fill_kernelILj256E21rocsparse_complex_numIdEEEviiiiPKiPKT0_iS4_S4_S7_S4_PiPS5_21rocsparse_index_base_,"axG",@progbits,_ZN9rocsparseL19hyb2csr_fill_kernelILj256E21rocsparse_complex_numIdEEEviiiiPKiPKT0_iS4_S4_S7_S4_PiPS5_21rocsparse_index_base_,comdat
.Lfunc_end4:
	.size	_ZN9rocsparseL19hyb2csr_fill_kernelILj256E21rocsparse_complex_numIdEEEviiiiPKiPKT0_iS4_S4_S7_S4_PiPS5_21rocsparse_index_base_, .Lfunc_end4-_ZN9rocsparseL19hyb2csr_fill_kernelILj256E21rocsparse_complex_numIdEEEviiiiPKiPKT0_iS4_S4_S7_S4_PiPS5_21rocsparse_index_base_
                                        ; -- End function
	.set _ZN9rocsparseL19hyb2csr_fill_kernelILj256E21rocsparse_complex_numIdEEEviiiiPKiPKT0_iS4_S4_S7_S4_PiPS5_21rocsparse_index_base_.num_vgpr, 15
	.set _ZN9rocsparseL19hyb2csr_fill_kernelILj256E21rocsparse_complex_numIdEEEviiiiPKiPKT0_iS4_S4_S7_S4_PiPS5_21rocsparse_index_base_.num_agpr, 0
	.set _ZN9rocsparseL19hyb2csr_fill_kernelILj256E21rocsparse_complex_numIdEEEviiiiPKiPKT0_iS4_S4_S7_S4_PiPS5_21rocsparse_index_base_.numbered_sgpr, 28
	.set _ZN9rocsparseL19hyb2csr_fill_kernelILj256E21rocsparse_complex_numIdEEEviiiiPKiPKT0_iS4_S4_S7_S4_PiPS5_21rocsparse_index_base_.num_named_barrier, 0
	.set _ZN9rocsparseL19hyb2csr_fill_kernelILj256E21rocsparse_complex_numIdEEEviiiiPKiPKT0_iS4_S4_S7_S4_PiPS5_21rocsparse_index_base_.private_seg_size, 0
	.set _ZN9rocsparseL19hyb2csr_fill_kernelILj256E21rocsparse_complex_numIdEEEviiiiPKiPKT0_iS4_S4_S7_S4_PiPS5_21rocsparse_index_base_.uses_vcc, 1
	.set _ZN9rocsparseL19hyb2csr_fill_kernelILj256E21rocsparse_complex_numIdEEEviiiiPKiPKT0_iS4_S4_S7_S4_PiPS5_21rocsparse_index_base_.uses_flat_scratch, 0
	.set _ZN9rocsparseL19hyb2csr_fill_kernelILj256E21rocsparse_complex_numIdEEEviiiiPKiPKT0_iS4_S4_S7_S4_PiPS5_21rocsparse_index_base_.has_dyn_sized_stack, 0
	.set _ZN9rocsparseL19hyb2csr_fill_kernelILj256E21rocsparse_complex_numIdEEEviiiiPKiPKT0_iS4_S4_S7_S4_PiPS5_21rocsparse_index_base_.has_recursion, 0
	.set _ZN9rocsparseL19hyb2csr_fill_kernelILj256E21rocsparse_complex_numIdEEEviiiiPKiPKT0_iS4_S4_S7_S4_PiPS5_21rocsparse_index_base_.has_indirect_call, 0
	.section	.AMDGPU.csdata,"",@progbits
; Kernel info:
; codeLenInByte = 600
; TotalNumSgprs: 32
; NumVgprs: 15
; ScratchSize: 0
; MemoryBound: 0
; FloatMode: 240
; IeeeMode: 1
; LDSByteSize: 0 bytes/workgroup (compile time only)
; SGPRBlocks: 3
; VGPRBlocks: 3
; NumSGPRsForWavesPerEU: 32
; NumVGPRsForWavesPerEU: 15
; Occupancy: 10
; WaveLimiterHint : 0
; COMPUTE_PGM_RSRC2:SCRATCH_EN: 0
; COMPUTE_PGM_RSRC2:USER_SGPR: 6
; COMPUTE_PGM_RSRC2:TRAP_HANDLER: 0
; COMPUTE_PGM_RSRC2:TGID_X_EN: 1
; COMPUTE_PGM_RSRC2:TGID_Y_EN: 0
; COMPUTE_PGM_RSRC2:TGID_Z_EN: 0
; COMPUTE_PGM_RSRC2:TIDIG_COMP_CNT: 0
	.section	.AMDGPU.gpr_maximums,"",@progbits
	.set amdgpu.max_num_vgpr, 0
	.set amdgpu.max_num_agpr, 0
	.set amdgpu.max_num_sgpr, 0
	.section	.AMDGPU.csdata,"",@progbits
	.type	__hip_cuid_7add0d9ec52fa6ee,@object ; @__hip_cuid_7add0d9ec52fa6ee
	.section	.bss,"aw",@nobits
	.globl	__hip_cuid_7add0d9ec52fa6ee
__hip_cuid_7add0d9ec52fa6ee:
	.byte	0                               ; 0x0
	.size	__hip_cuid_7add0d9ec52fa6ee, 1

	.ident	"AMD clang version 22.0.0git (https://github.com/RadeonOpenCompute/llvm-project roc-7.2.4 26084 f58b06dce1f9c15707c5f808fd002e18c2accf7e)"
	.section	".note.GNU-stack","",@progbits
	.addrsig
	.addrsig_sym __hip_cuid_7add0d9ec52fa6ee
	.amdgpu_metadata
---
amdhsa.kernels:
  - .args:
      - .offset:         0
        .size:           4
        .value_kind:     by_value
      - .offset:         4
        .size:           4
        .value_kind:     by_value
      - .offset:         8
        .size:           4
        .value_kind:     by_value
      - .offset:         12
        .size:           4
        .value_kind:     by_value
      - .address_space:  global
        .offset:         16
        .size:           8
        .value_kind:     global_buffer
      - .offset:         24
        .size:           4
        .value_kind:     by_value
      - .address_space:  global
        .offset:         32
        .size:           8
        .value_kind:     global_buffer
      - .address_space:  global
        .offset:         40
        .size:           8
        .value_kind:     global_buffer
      - .offset:         48
        .size:           4
        .value_kind:     by_value
    .group_segment_fixed_size: 0
    .kernarg_segment_align: 8
    .kernarg_segment_size: 52
    .language:       OpenCL C
    .language_version:
      - 2
      - 0
    .max_flat_workgroup_size: 256
    .name:           _ZN9rocsparseL18hyb2csr_nnz_kernelILj256EEEviiiiPKiiS2_Pi21rocsparse_index_base_
    .private_segment_fixed_size: 0
    .sgpr_count:     20
    .sgpr_spill_count: 0
    .symbol:         _ZN9rocsparseL18hyb2csr_nnz_kernelILj256EEEviiiiPKiiS2_Pi21rocsparse_index_base_.kd
    .uniform_work_group_size: 1
    .uses_dynamic_stack: false
    .vgpr_count:     10
    .vgpr_spill_count: 0
    .wavefront_size: 64
  - .args:
      - .offset:         0
        .size:           4
        .value_kind:     by_value
      - .offset:         4
        .size:           4
        .value_kind:     by_value
      - .offset:         8
        .size:           4
        .value_kind:     by_value
      - .offset:         12
        .size:           4
        .value_kind:     by_value
      - .address_space:  global
        .offset:         16
        .size:           8
        .value_kind:     global_buffer
      - .address_space:  global
        .offset:         24
        .size:           8
        .value_kind:     global_buffer
      - .offset:         32
        .size:           4
        .value_kind:     by_value
      - .address_space:  global
        .offset:         40
        .size:           8
        .value_kind:     global_buffer
      - .address_space:  global
        .offset:         48
        .size:           8
        .value_kind:     global_buffer
      - .address_space:  global
        .offset:         56
        .size:           8
        .value_kind:     global_buffer
      - .address_space:  global
        .offset:         64
        .size:           8
        .value_kind:     global_buffer
      - .address_space:  global
        .offset:         72
        .size:           8
        .value_kind:     global_buffer
      - .address_space:  global
        .offset:         80
        .size:           8
        .value_kind:     global_buffer
      - .offset:         88
        .size:           4
        .value_kind:     by_value
    .group_segment_fixed_size: 0
    .kernarg_segment_align: 8
    .kernarg_segment_size: 92
    .language:       OpenCL C
    .language_version:
      - 2
      - 0
    .max_flat_workgroup_size: 256
    .name:           _ZN9rocsparseL19hyb2csr_fill_kernelILj256EfEEviiiiPKiPKT0_iS2_S2_S5_S2_PiPS3_21rocsparse_index_base_
    .private_segment_fixed_size: 0
    .sgpr_count:     32
    .sgpr_spill_count: 0
    .symbol:         _ZN9rocsparseL19hyb2csr_fill_kernelILj256EfEEviiiiPKiPKT0_iS2_S2_S5_S2_PiPS3_21rocsparse_index_base_.kd
    .uniform_work_group_size: 1
    .uses_dynamic_stack: false
    .vgpr_count:     13
    .vgpr_spill_count: 0
    .wavefront_size: 64
  - .args:
      - .offset:         0
        .size:           4
        .value_kind:     by_value
      - .offset:         4
        .size:           4
        .value_kind:     by_value
      - .offset:         8
        .size:           4
        .value_kind:     by_value
      - .offset:         12
        .size:           4
        .value_kind:     by_value
      - .address_space:  global
        .offset:         16
        .size:           8
        .value_kind:     global_buffer
      - .address_space:  global
        .offset:         24
        .size:           8
        .value_kind:     global_buffer
      - .offset:         32
        .size:           4
        .value_kind:     by_value
      - .address_space:  global
        .offset:         40
        .size:           8
        .value_kind:     global_buffer
      - .address_space:  global
        .offset:         48
        .size:           8
        .value_kind:     global_buffer
      - .address_space:  global
        .offset:         56
        .size:           8
        .value_kind:     global_buffer
      - .address_space:  global
        .offset:         64
        .size:           8
        .value_kind:     global_buffer
      - .address_space:  global
        .offset:         72
        .size:           8
        .value_kind:     global_buffer
      - .address_space:  global
        .offset:         80
        .size:           8
        .value_kind:     global_buffer
      - .offset:         88
        .size:           4
        .value_kind:     by_value
    .group_segment_fixed_size: 0
    .kernarg_segment_align: 8
    .kernarg_segment_size: 92
    .language:       OpenCL C
    .language_version:
      - 2
      - 0
    .max_flat_workgroup_size: 256
    .name:           _ZN9rocsparseL19hyb2csr_fill_kernelILj256EdEEviiiiPKiPKT0_iS2_S2_S5_S2_PiPS3_21rocsparse_index_base_
    .private_segment_fixed_size: 0
    .sgpr_count:     32
    .sgpr_spill_count: 0
    .symbol:         _ZN9rocsparseL19hyb2csr_fill_kernelILj256EdEEviiiiPKiPKT0_iS2_S2_S5_S2_PiPS3_21rocsparse_index_base_.kd
    .uniform_work_group_size: 1
    .uses_dynamic_stack: false
    .vgpr_count:     15
    .vgpr_spill_count: 0
    .wavefront_size: 64
  - .args:
      - .offset:         0
        .size:           4
        .value_kind:     by_value
      - .offset:         4
        .size:           4
        .value_kind:     by_value
      - .offset:         8
        .size:           4
        .value_kind:     by_value
      - .offset:         12
        .size:           4
        .value_kind:     by_value
      - .address_space:  global
        .offset:         16
        .size:           8
        .value_kind:     global_buffer
      - .address_space:  global
        .offset:         24
        .size:           8
        .value_kind:     global_buffer
      - .offset:         32
        .size:           4
        .value_kind:     by_value
      - .address_space:  global
        .offset:         40
        .size:           8
        .value_kind:     global_buffer
      - .address_space:  global
        .offset:         48
        .size:           8
        .value_kind:     global_buffer
      - .address_space:  global
        .offset:         56
        .size:           8
        .value_kind:     global_buffer
      - .address_space:  global
        .offset:         64
        .size:           8
        .value_kind:     global_buffer
      - .address_space:  global
        .offset:         72
        .size:           8
        .value_kind:     global_buffer
      - .address_space:  global
        .offset:         80
        .size:           8
        .value_kind:     global_buffer
      - .offset:         88
        .size:           4
        .value_kind:     by_value
    .group_segment_fixed_size: 0
    .kernarg_segment_align: 8
    .kernarg_segment_size: 92
    .language:       OpenCL C
    .language_version:
      - 2
      - 0
    .max_flat_workgroup_size: 256
    .name:           _ZN9rocsparseL19hyb2csr_fill_kernelILj256E21rocsparse_complex_numIfEEEviiiiPKiPKT0_iS4_S4_S7_S4_PiPS5_21rocsparse_index_base_
    .private_segment_fixed_size: 0
    .sgpr_count:     32
    .sgpr_spill_count: 0
    .symbol:         _ZN9rocsparseL19hyb2csr_fill_kernelILj256E21rocsparse_complex_numIfEEEviiiiPKiPKT0_iS4_S4_S7_S4_PiPS5_21rocsparse_index_base_.kd
    .uniform_work_group_size: 1
    .uses_dynamic_stack: false
    .vgpr_count:     13
    .vgpr_spill_count: 0
    .wavefront_size: 64
  - .args:
      - .offset:         0
        .size:           4
        .value_kind:     by_value
      - .offset:         4
        .size:           4
        .value_kind:     by_value
      - .offset:         8
        .size:           4
        .value_kind:     by_value
      - .offset:         12
        .size:           4
        .value_kind:     by_value
      - .address_space:  global
        .offset:         16
        .size:           8
        .value_kind:     global_buffer
      - .address_space:  global
        .offset:         24
        .size:           8
        .value_kind:     global_buffer
      - .offset:         32
        .size:           4
        .value_kind:     by_value
      - .address_space:  global
        .offset:         40
        .size:           8
        .value_kind:     global_buffer
      - .address_space:  global
        .offset:         48
        .size:           8
        .value_kind:     global_buffer
      - .address_space:  global
        .offset:         56
        .size:           8
        .value_kind:     global_buffer
      - .address_space:  global
        .offset:         64
        .size:           8
        .value_kind:     global_buffer
      - .address_space:  global
        .offset:         72
        .size:           8
        .value_kind:     global_buffer
      - .address_space:  global
        .offset:         80
        .size:           8
        .value_kind:     global_buffer
      - .offset:         88
        .size:           4
        .value_kind:     by_value
    .group_segment_fixed_size: 0
    .kernarg_segment_align: 8
    .kernarg_segment_size: 92
    .language:       OpenCL C
    .language_version:
      - 2
      - 0
    .max_flat_workgroup_size: 256
    .name:           _ZN9rocsparseL19hyb2csr_fill_kernelILj256E21rocsparse_complex_numIdEEEviiiiPKiPKT0_iS4_S4_S7_S4_PiPS5_21rocsparse_index_base_
    .private_segment_fixed_size: 0
    .sgpr_count:     32
    .sgpr_spill_count: 0
    .symbol:         _ZN9rocsparseL19hyb2csr_fill_kernelILj256E21rocsparse_complex_numIdEEEviiiiPKiPKT0_iS4_S4_S7_S4_PiPS5_21rocsparse_index_base_.kd
    .uniform_work_group_size: 1
    .uses_dynamic_stack: false
    .vgpr_count:     15
    .vgpr_spill_count: 0
    .wavefront_size: 64
amdhsa.target:   amdgcn-amd-amdhsa--gfx906
amdhsa.version:
  - 1
  - 2
...

	.end_amdgpu_metadata
